;; amdgpu-corpus repo=ROCm/rocFFT kind=compiled arch=gfx1030 opt=O3
	.text
	.amdgcn_target "amdgcn-amd-amdhsa--gfx1030"
	.amdhsa_code_object_version 6
	.protected	fft_rtc_fwd_len208_factors_13_16_wgs_144_tpt_16_dp_ip_CI_sbcc_twdbase5_3step_dirReg_intrinsicReadWrite ; -- Begin function fft_rtc_fwd_len208_factors_13_16_wgs_144_tpt_16_dp_ip_CI_sbcc_twdbase5_3step_dirReg_intrinsicReadWrite
	.globl	fft_rtc_fwd_len208_factors_13_16_wgs_144_tpt_16_dp_ip_CI_sbcc_twdbase5_3step_dirReg_intrinsicReadWrite
	.p2align	8
	.type	fft_rtc_fwd_len208_factors_13_16_wgs_144_tpt_16_dp_ip_CI_sbcc_twdbase5_3step_dirReg_intrinsicReadWrite,@function
fft_rtc_fwd_len208_factors_13_16_wgs_144_tpt_16_dp_ip_CI_sbcc_twdbase5_3step_dirReg_intrinsicReadWrite: ; @fft_rtc_fwd_len208_factors_13_16_wgs_144_tpt_16_dp_ip_CI_sbcc_twdbase5_3step_dirReg_intrinsicReadWrite
; %bb.0:
	s_load_dwordx8 s[8:15], s[4:5], 0x8
	s_mov_b32 s0, exec_lo
	v_cmpx_gt_u32_e32 0x60, v0
	s_cbranch_execz .LBB0_2
; %bb.1:
	v_lshlrev_b32_e32 v5, 4, v0
	s_waitcnt lgkmcnt(0)
	global_load_dwordx4 v[1:4], v5, s[8:9]
	v_add3_u32 v5, 0, v5, 0x7500
	s_waitcnt vmcnt(0)
	ds_write2_b64 v5, v[1:2], v[3:4] offset1:1
.LBB0_2:
	s_or_b32 exec_lo, exec_lo, s0
	s_waitcnt lgkmcnt(0)
	s_load_dwordx2 s[0:1], s[12:13], 0x8
	s_mov_b64 s[22:23], 0
	s_waitcnt lgkmcnt(0)
	s_add_u32 s2, s0, -1
	s_addc_u32 s3, s1, -1
	s_add_u32 s7, 0, 0x71c4fc00
	s_addc_u32 s8, 0, 0x7c
	s_mul_hi_u32 s16, s7, -9
	s_add_i32 s8, s8, 0x1c71c6a0
	s_sub_i32 s16, s16, s7
	s_mul_i32 s18, s8, -9
	s_mul_i32 s9, s7, -9
	s_add_i32 s16, s16, s18
	s_mul_hi_u32 s17, s7, s9
	s_mul_i32 s20, s7, s16
	s_mul_hi_u32 s18, s7, s16
	s_mul_hi_u32 s19, s8, s9
	s_mul_i32 s9, s8, s9
	s_add_u32 s17, s17, s20
	s_addc_u32 s18, 0, s18
	s_mul_hi_u32 s21, s8, s16
	s_add_u32 s9, s17, s9
	s_mul_i32 s16, s8, s16
	s_addc_u32 s9, s18, s19
	s_addc_u32 s17, s21, 0
	s_add_u32 s9, s9, s16
	v_add_co_u32 v1, s7, s7, s9
	s_addc_u32 s9, 0, s17
	s_cmp_lg_u32 s7, 0
	s_addc_u32 s7, s8, s9
	v_readfirstlane_b32 s8, v1
	s_mul_i32 s16, s2, s7
	s_mul_hi_u32 s9, s2, s7
	s_mul_hi_u32 s17, s3, s7
	s_mul_i32 s7, s3, s7
	s_mul_hi_u32 s18, s2, s8
	s_mul_hi_u32 s19, s3, s8
	s_mul_i32 s8, s3, s8
	s_add_u32 s16, s18, s16
	s_addc_u32 s9, 0, s9
	s_add_u32 s8, s16, s8
	s_addc_u32 s8, s9, s19
	s_addc_u32 s9, s17, 0
	s_add_u32 s8, s8, s7
	s_addc_u32 s9, 0, s9
	s_mul_i32 s16, s8, 9
	s_add_u32 s7, s8, 1
	v_sub_co_u32 v1, s2, s2, s16
	s_mul_hi_u32 s16, s8, 9
	s_addc_u32 s17, s9, 0
	s_mul_i32 s18, s9, 9
	v_sub_co_u32 v2, s19, v1, 9
	s_add_u32 s20, s8, 2
	s_addc_u32 s21, s9, 0
	s_add_i32 s16, s16, s18
	s_cmp_lg_u32 s2, 0
	v_readfirstlane_b32 s2, v2
	s_subb_u32 s3, s3, s16
	s_cmp_lg_u32 s19, 0
	s_subb_u32 s16, s3, 0
	s_cmp_gt_u32 s2, 8
	s_cselect_b32 s2, -1, 0
	s_cmp_eq_u32 s16, 0
	v_readfirstlane_b32 s16, v1
	s_cselect_b32 s2, s2, -1
	s_cmp_lg_u32 s2, 0
	s_cselect_b32 s2, s20, s7
	s_cselect_b32 s17, s21, s17
	s_cmp_gt_u32 s16, 8
	s_cselect_b32 s7, -1, 0
	s_cmp_eq_u32 s3, 0
	s_cselect_b32 s3, s7, -1
	s_mov_b32 s7, 0
	s_cmp_lg_u32 s3, 0
	s_cselect_b32 s2, s2, s8
	s_cselect_b32 s3, s17, s9
	s_add_u32 s20, s2, 1
	s_addc_u32 s21, s3, 0
	v_cmp_lt_u64_e64 s2, s[6:7], s[20:21]
	s_and_b32 vcc_lo, exec_lo, s2
	s_cbranch_vccnz .LBB0_4
; %bb.3:
	v_cvt_f32_u32_e32 v1, s20
	s_sub_i32 s3, 0, s20
	s_mov_b32 s23, s7
	v_rcp_iflag_f32_e32 v1, v1
	v_mul_f32_e32 v1, 0x4f7ffffe, v1
	v_cvt_u32_f32_e32 v1, v1
	v_readfirstlane_b32 s2, v1
	s_mul_i32 s3, s3, s2
	s_mul_hi_u32 s3, s2, s3
	s_add_i32 s2, s2, s3
	s_mul_hi_u32 s2, s6, s2
	s_mul_i32 s3, s2, s20
	s_add_i32 s8, s2, 1
	s_sub_i32 s3, s6, s3
	s_sub_i32 s9, s3, s20
	s_cmp_ge_u32 s3, s20
	s_cselect_b32 s2, s8, s2
	s_cselect_b32 s3, s9, s3
	s_add_i32 s8, s2, 1
	s_cmp_ge_u32 s3, s20
	s_cselect_b32 s22, s8, s2
.LBB0_4:
	s_load_dwordx4 s[16:19], s[14:15], 0x0
	s_clause 0x1
	s_load_dwordx2 s[8:9], s[4:5], 0x58
	s_load_dwordx2 s[2:3], s[4:5], 0x0
	s_mul_i32 s4, s22, s21
	s_mul_hi_u32 s5, s22, s20
	s_waitcnt lgkmcnt(0)
	s_mul_i32 s17, s22, s20
	s_add_i32 s5, s5, s4
	s_sub_u32 s33, s6, s17
	s_subb_u32 s4, 0, s5
	v_cmp_lt_u64_e64 s24, s[10:11], 3
	s_mul_hi_u32 s17, s33, 9
	s_mul_i32 s4, s4, 9
	s_mul_i32 s33, s33, 9
	s_add_i32 s17, s17, s4
	s_and_b32 vcc_lo, exec_lo, s24
	s_mul_i32 s4, s18, s17
	s_mul_hi_u32 s5, s18, s33
	s_mul_i32 s24, s19, s33
	s_add_i32 s4, s5, s4
	s_mul_i32 s34, s18, s33
	s_add_i32 s35, s4, s24
	s_cbranch_vccnz .LBB0_12
; %bb.5:
	s_add_u32 s4, s14, 16
	s_addc_u32 s5, s15, 0
	s_add_u32 s12, s12, 16
	s_addc_u32 s13, s13, 0
	s_mov_b64 s[24:25], 2
	s_mov_b32 s26, 0
.LBB0_6:                                ; =>This Inner Loop Header: Depth=1
	s_load_dwordx2 s[28:29], s[12:13], 0x0
	s_waitcnt lgkmcnt(0)
	s_or_b64 s[30:31], s[22:23], s[28:29]
	s_mov_b32 s27, s31
                                        ; implicit-def: $sgpr30_sgpr31
	s_cmp_lg_u64 s[26:27], 0
	s_mov_b32 s27, -1
	s_cbranch_scc0 .LBB0_8
; %bb.7:                                ;   in Loop: Header=BB0_6 Depth=1
	v_cvt_f32_u32_e32 v1, s28
	v_cvt_f32_u32_e32 v2, s29
	s_sub_u32 s31, 0, s28
	s_subb_u32 s36, 0, s29
	v_fmac_f32_e32 v1, 0x4f800000, v2
	v_rcp_f32_e32 v1, v1
	v_mul_f32_e32 v1, 0x5f7ffffc, v1
	v_mul_f32_e32 v2, 0x2f800000, v1
	v_trunc_f32_e32 v2, v2
	v_fmac_f32_e32 v1, 0xcf800000, v2
	v_cvt_u32_f32_e32 v2, v2
	v_cvt_u32_f32_e32 v1, v1
	v_readfirstlane_b32 s27, v2
	v_readfirstlane_b32 s30, v1
	s_mul_i32 s37, s31, s27
	s_mul_hi_u32 s39, s31, s30
	s_mul_i32 s38, s36, s30
	s_add_i32 s37, s39, s37
	s_mul_i32 s40, s31, s30
	s_add_i32 s37, s37, s38
	s_mul_hi_u32 s39, s30, s40
	s_mul_hi_u32 s41, s27, s40
	s_mul_i32 s38, s27, s40
	s_mul_hi_u32 s40, s30, s37
	s_mul_i32 s30, s30, s37
	s_mul_hi_u32 s42, s27, s37
	s_add_u32 s30, s39, s30
	s_addc_u32 s39, 0, s40
	s_add_u32 s30, s30, s38
	s_mul_i32 s37, s27, s37
	s_addc_u32 s30, s39, s41
	s_addc_u32 s38, s42, 0
	s_add_u32 s30, s30, s37
	s_addc_u32 s37, 0, s38
	v_add_co_u32 v1, s30, v1, s30
	s_cmp_lg_u32 s30, 0
	s_addc_u32 s27, s27, s37
	v_readfirstlane_b32 s30, v1
	s_mul_i32 s37, s31, s27
	s_mul_hi_u32 s38, s31, s30
	s_mul_i32 s36, s36, s30
	s_add_i32 s37, s38, s37
	s_mul_i32 s31, s31, s30
	s_add_i32 s37, s37, s36
	s_mul_hi_u32 s38, s27, s31
	s_mul_i32 s39, s27, s31
	s_mul_hi_u32 s31, s30, s31
	s_mul_hi_u32 s40, s30, s37
	s_mul_i32 s30, s30, s37
	s_mul_hi_u32 s36, s27, s37
	s_add_u32 s30, s31, s30
	s_addc_u32 s31, 0, s40
	s_add_u32 s30, s30, s39
	s_mul_i32 s37, s27, s37
	s_addc_u32 s30, s31, s38
	s_addc_u32 s31, s36, 0
	s_add_u32 s30, s30, s37
	s_addc_u32 s31, 0, s31
	v_add_co_u32 v1, s30, v1, s30
	s_cmp_lg_u32 s30, 0
	s_addc_u32 s27, s27, s31
	v_readfirstlane_b32 s30, v1
	s_mul_i32 s36, s22, s27
	s_mul_hi_u32 s31, s22, s27
	s_mul_hi_u32 s37, s23, s27
	s_mul_i32 s27, s23, s27
	s_mul_hi_u32 s38, s22, s30
	s_mul_hi_u32 s39, s23, s30
	s_mul_i32 s30, s23, s30
	s_add_u32 s36, s38, s36
	s_addc_u32 s31, 0, s31
	s_add_u32 s30, s36, s30
	s_addc_u32 s30, s31, s39
	s_addc_u32 s31, s37, 0
	s_add_u32 s30, s30, s27
	s_addc_u32 s31, 0, s31
	s_mul_hi_u32 s27, s28, s30
	s_mul_i32 s37, s28, s31
	s_mul_i32 s38, s28, s30
	s_add_i32 s27, s27, s37
	v_sub_co_u32 v1, s37, s22, s38
	s_mul_i32 s36, s29, s30
	s_add_i32 s27, s27, s36
	v_sub_co_u32 v2, s38, v1, s28
	s_sub_i32 s36, s23, s27
	s_cmp_lg_u32 s37, 0
	s_subb_u32 s36, s36, s29
	s_cmp_lg_u32 s38, 0
	v_readfirstlane_b32 s38, v2
	s_subb_u32 s36, s36, 0
	s_cmp_ge_u32 s36, s29
	s_cselect_b32 s39, -1, 0
	s_cmp_ge_u32 s38, s28
	s_cselect_b32 s38, -1, 0
	s_cmp_eq_u32 s36, s29
	s_cselect_b32 s36, s38, s39
	s_add_u32 s38, s30, 1
	s_addc_u32 s39, s31, 0
	s_add_u32 s40, s30, 2
	s_addc_u32 s41, s31, 0
	s_cmp_lg_u32 s36, 0
	s_cselect_b32 s36, s40, s38
	s_cselect_b32 s38, s41, s39
	s_cmp_lg_u32 s37, 0
	v_readfirstlane_b32 s37, v1
	s_subb_u32 s27, s23, s27
	s_cmp_ge_u32 s27, s29
	s_cselect_b32 s39, -1, 0
	s_cmp_ge_u32 s37, s28
	s_cselect_b32 s37, -1, 0
	s_cmp_eq_u32 s27, s29
	s_cselect_b32 s27, s37, s39
	s_cmp_lg_u32 s27, 0
	s_mov_b32 s27, 0
	s_cselect_b32 s31, s38, s31
	s_cselect_b32 s30, s36, s30
.LBB0_8:                                ;   in Loop: Header=BB0_6 Depth=1
	s_andn2_b32 vcc_lo, exec_lo, s27
	s_cbranch_vccnz .LBB0_10
; %bb.9:                                ;   in Loop: Header=BB0_6 Depth=1
	v_cvt_f32_u32_e32 v1, s28
	s_sub_i32 s30, 0, s28
	v_rcp_iflag_f32_e32 v1, v1
	v_mul_f32_e32 v1, 0x4f7ffffe, v1
	v_cvt_u32_f32_e32 v1, v1
	v_readfirstlane_b32 s27, v1
	s_mul_i32 s30, s30, s27
	s_mul_hi_u32 s30, s27, s30
	s_add_i32 s27, s27, s30
	s_mul_hi_u32 s27, s22, s27
	s_mul_i32 s30, s27, s28
	s_add_i32 s31, s27, 1
	s_sub_i32 s30, s22, s30
	s_sub_i32 s36, s30, s28
	s_cmp_ge_u32 s30, s28
	s_cselect_b32 s27, s31, s27
	s_cselect_b32 s30, s36, s30
	s_add_i32 s31, s27, 1
	s_cmp_ge_u32 s30, s28
	s_cselect_b32 s30, s31, s27
	s_mov_b32 s31, s26
.LBB0_10:                               ;   in Loop: Header=BB0_6 Depth=1
	s_load_dwordx2 s[36:37], s[4:5], 0x0
	s_mul_i32 s21, s28, s21
	s_mul_hi_u32 s27, s28, s20
	s_mul_i32 s38, s29, s20
	s_mul_i32 s29, s30, s29
	s_mul_hi_u32 s39, s30, s28
	s_mul_i32 s40, s31, s28
	s_add_i32 s21, s27, s21
	s_add_i32 s27, s39, s29
	s_mul_i32 s41, s30, s28
	s_add_i32 s21, s21, s38
	s_add_i32 s27, s27, s40
	s_sub_u32 s22, s22, s41
	s_subb_u32 s23, s23, s27
	s_mul_i32 s20, s28, s20
	s_waitcnt lgkmcnt(0)
	s_mul_i32 s23, s36, s23
	s_mul_hi_u32 s27, s36, s22
	s_add_i32 s23, s27, s23
	s_mul_i32 s27, s37, s22
	s_mul_i32 s22, s36, s22
	s_add_i32 s23, s23, s27
	s_add_u32 s34, s22, s34
	s_addc_u32 s35, s23, s35
	s_add_u32 s24, s24, 1
	s_addc_u32 s25, s25, 0
	s_add_u32 s4, s4, 8
	v_cmp_ge_u64_e64 s22, s[24:25], s[10:11]
	s_addc_u32 s5, s5, 0
	s_add_u32 s12, s12, 8
	s_addc_u32 s13, s13, 0
	s_and_b32 vcc_lo, exec_lo, s22
	s_cbranch_vccnz .LBB0_13
; %bb.11:                               ;   in Loop: Header=BB0_6 Depth=1
	s_mov_b64 s[22:23], s[30:31]
	s_branch .LBB0_6
.LBB0_12:
	v_mov_b32_e32 v1, s22
	v_mov_b32_e32 v2, s23
	s_branch .LBB0_15
.LBB0_13:
	v_cmp_lt_u64_e64 s4, s[6:7], s[20:21]
	v_mov_b32_e32 v1, 0
	v_mov_b32_e32 v2, 0
	s_and_b32 vcc_lo, exec_lo, s4
	s_cbranch_vccnz .LBB0_15
; %bb.14:
	v_cvt_f32_u32_e32 v1, s20
	s_sub_i32 s4, 0, s20
	v_rcp_iflag_f32_e32 v1, v1
	v_mul_f32_e32 v1, 0x4f7ffffe, v1
	v_cvt_u32_f32_e32 v1, v1
	v_mul_lo_u32 v2, s4, v1
	v_mul_hi_u32 v2, v1, v2
	v_add_nc_u32_e32 v1, v1, v2
	v_mul_hi_u32 v1, s6, v1
	v_mul_lo_u32 v2, v1, s20
	v_add_nc_u32_e32 v3, 1, v1
	v_sub_nc_u32_e32 v2, s6, v2
	v_subrev_nc_u32_e32 v4, s20, v2
	v_cmp_le_u32_e32 vcc_lo, s20, v2
	v_cndmask_b32_e32 v2, v2, v4, vcc_lo
	v_cndmask_b32_e32 v1, v1, v3, vcc_lo
	v_cmp_le_u32_e32 vcc_lo, s20, v2
	v_add_nc_u32_e32 v3, 1, v1
	v_cndmask_b32_e32 v1, v1, v3, vcc_lo
.LBB0_15:
	s_lshl_b64 s[4:5], s[10:11], 3
	v_mul_hi_u32 v72, 0x1c71c71d, v0
	s_add_u32 s4, s14, s4
	s_addc_u32 s5, s15, s5
	s_mov_b32 s11, 0x31014000
	s_load_dword s4, s[4:5], 0x0
	s_mov_b32 s10, -2
	s_mov_b32 s22, 0x66966769
	s_mov_b32 s30, 0x4bc48dbf
	;; [unrolled: 1-line block ×18, first 2 shown]
	s_waitcnt lgkmcnt(0)
	v_mul_lo_u32 v1, s4, v1
	s_mov_b32 s14, s22
	s_mov_b32 s39, 0x3fedeba7
	v_add_nc_u32_e32 v3, s34, v1
	v_mul_u32_u24_e32 v1, 9, v72
	s_mov_b32 s34, 0x42a4c3d2
	s_mov_b32 s35, 0xbfea55e2
	v_lshlrev_b32_e32 v76, 4, v3
	v_sub_nc_u32_e32 v73, v0, v1
	v_mad_u64_u32 v[65:66], null, s18, v73, 0
	v_add_co_u32 v67, s4, s33, v73
	v_add_co_ci_u32_e64 v68, null, s17, 0, s4
	s_add_u32 s4, s33, 9
	s_addc_u32 s5, s17, 0
	v_mov_b32_e32 v1, v66
	v_cmp_le_u64_e64 s17, s[4:5], s[0:1]
	v_cmp_gt_u64_e32 vcc_lo, s[0:1], v[67:68]
	v_readfirstlane_b32 s1, v76
	s_mov_b32 s4, 0x2ef20147
	v_mad_u64_u32 v[1:2], null, s19, v73, v[1:2]
	v_mul_lo_u32 v1, s16, v72
	s_or_b32 s0, s17, vcc_lo
	s_mov_b32 s18, 0x24c2f84
	s_mov_b32 s5, 0xbfedeba7
	;; [unrolled: 1-line block ×5, first 2 shown]
	v_add_lshl_u32 v1, v65, v1, 4
	v_cndmask_b32_e64 v1, -1, v1, s0
	buffer_load_dwordx4 v[29:32], v1, s[8:11], s1 offen
	v_add_nc_u32_e32 v1, 16, v72
	v_mul_lo_u32 v1, s16, v1
	v_add_lshl_u32 v1, v65, v1, 4
	v_cndmask_b32_e64 v1, -1, v1, s0
	buffer_load_dwordx4 v[49:52], v1, s[8:11], s1 offen
	v_or_b32_e32 v1, 32, v72
	v_mul_lo_u32 v1, s16, v1
	v_add_lshl_u32 v1, v65, v1, 4
	v_cndmask_b32_e64 v1, -1, v1, s0
	buffer_load_dwordx4 v[41:44], v1, s[8:11], s1 offen
	v_add_nc_u32_e32 v1, 48, v72
	v_mul_lo_u32 v1, s16, v1
	v_add_lshl_u32 v1, v65, v1, 4
	v_cndmask_b32_e64 v1, -1, v1, s0
	buffer_load_dwordx4 v[33:36], v1, s[8:11], s1 offen
	v_or_b32_e32 v1, 64, v72
	v_mul_lo_u32 v1, s16, v1
	v_add_lshl_u32 v1, v65, v1, 4
	v_cndmask_b32_e64 v1, -1, v1, s0
	buffer_load_dwordx4 v[21:24], v1, s[8:11], s1 offen
	v_add_nc_u32_e32 v1, 0x50, v72
	v_mul_lo_u32 v1, s16, v1
	v_add_lshl_u32 v1, v65, v1, 4
	v_cndmask_b32_e64 v1, -1, v1, s0
	buffer_load_dwordx4 v[13:16], v1, s[8:11], s1 offen
	v_or_b32_e32 v1, 0x60, v72
	v_mul_lo_u32 v1, s16, v1
	v_add_lshl_u32 v1, v65, v1, 4
	v_cndmask_b32_e64 v1, -1, v1, s0
	buffer_load_dwordx4 v[5:8], v1, s[8:11], s1 offen
	v_add_nc_u32_e32 v1, 0x70, v72
	v_mul_lo_u32 v1, s16, v1
	v_add_lshl_u32 v1, v65, v1, 4
	v_cndmask_b32_e64 v1, -1, v1, s0
	buffer_load_dwordx4 v[9:12], v1, s[8:11], s1 offen
	v_or_b32_e32 v1, 0x80, v72
	v_mul_lo_u32 v1, s16, v1
	v_add_lshl_u32 v1, v65, v1, 4
	v_cndmask_b32_e64 v1, -1, v1, s0
	buffer_load_dwordx4 v[17:20], v1, s[8:11], s1 offen
	v_add_nc_u32_e32 v1, 0x90, v72
	v_mul_lo_u32 v1, s16, v1
	v_add_lshl_u32 v1, v65, v1, 4
	v_cndmask_b32_e64 v1, -1, v1, s0
	buffer_load_dwordx4 v[25:28], v1, s[8:11], s1 offen
	v_or_b32_e32 v1, 0xa0, v72
	v_mul_lo_u32 v1, s16, v1
	v_add_lshl_u32 v1, v65, v1, 4
	v_cndmask_b32_e64 v1, -1, v1, s0
	buffer_load_dwordx4 v[37:40], v1, s[8:11], s1 offen
	v_add_nc_u32_e32 v1, 0xb0, v72
	v_mul_lo_u32 v1, s16, v1
	v_add_lshl_u32 v1, v65, v1, 4
	v_cndmask_b32_e64 v1, -1, v1, s0
	buffer_load_dwordx4 v[45:48], v1, s[8:11], s1 offen
	v_or_b32_e32 v1, 0xc0, v72
	v_mul_lo_u32 v1, s16, v1
	v_add_lshl_u32 v1, v65, v1, 4
	v_cndmask_b32_e64 v1, -1, v1, s0
	buffer_load_dwordx4 v[53:56], v1, s[8:11], s1 offen
	s_mov_b32 s0, 0xebaa3ed8
	s_mov_b32 s1, 0x3fbedb7d
	s_waitcnt vmcnt(11)
	v_add_f64 v[1:2], v[29:30], v[49:50]
	v_add_f64 v[3:4], v[31:32], v[51:52]
	s_waitcnt vmcnt(10)
	v_add_f64 v[1:2], v[1:2], v[41:42]
	v_add_f64 v[3:4], v[3:4], v[43:44]
	;; [unrolled: 3-line block ×11, first 2 shown]
	s_waitcnt vmcnt(0)
	v_add_f64 v[59:60], v[51:52], v[55:56]
	v_add_f64 v[51:52], v[51:52], -v[55:56]
	v_add_f64 v[1:2], v[1:2], v[53:54]
	v_add_f64 v[57:58], v[49:50], v[53:54]
	v_add_f64 v[49:50], v[49:50], -v[53:54]
	v_add_f64 v[3:4], v[3:4], v[55:56]
	v_mul_f64 v[53:54], v[51:52], s[26:27]
	v_mul_f64 v[68:69], v[51:52], s[34:35]
	;; [unrolled: 1-line block ×12, first 2 shown]
	s_mov_b32 s27, 0x3fddbe06
	v_fma_f64 v[55:56], v[57:58], s[24:25], -v[53:54]
	v_fma_f64 v[53:54], v[57:58], s[24:25], v[53:54]
	v_fma_f64 v[70:71], v[57:58], s[12:13], -v[68:69]
	v_fma_f64 v[68:69], v[57:58], s[12:13], v[68:69]
	;; [unrolled: 2-line block ×6, first 2 shown]
	v_fma_f64 v[63:64], v[59:60], s[24:25], v[61:62]
	v_fma_f64 v[61:62], v[59:60], s[24:25], -v[61:62]
	v_fma_f64 v[77:78], v[59:60], s[12:13], v[74:75]
	v_fma_f64 v[74:75], v[59:60], s[12:13], -v[74:75]
	;; [unrolled: 2-line block ×5, first 2 shown]
	v_add_f64 v[55:56], v[29:30], v[55:56]
	v_add_f64 v[53:54], v[29:30], v[53:54]
	;; [unrolled: 1-line block ×11, first 2 shown]
	v_fma_f64 v[105:106], v[59:60], s[28:29], v[49:50]
	v_add_f64 v[29:30], v[29:30], v[51:52]
	v_fma_f64 v[49:50], v[59:60], s[28:29], -v[49:50]
	v_add_f64 v[51:52], v[43:44], v[47:48]
	v_add_f64 v[43:44], v[43:44], -v[47:48]
	v_add_f64 v[63:64], v[31:32], v[63:64]
	v_add_f64 v[61:62], v[31:32], v[61:62]
	;; [unrolled: 1-line block ×13, first 2 shown]
	v_add_f64 v[41:42], v[41:42], -v[45:46]
	v_mul_f64 v[45:46], v[43:44], s[34:35]
	v_fma_f64 v[47:48], v[49:50], s[12:13], -v[45:46]
	v_fma_f64 v[45:46], v[49:50], s[12:13], v[45:46]
	v_add_f64 v[47:48], v[47:48], v[55:56]
	v_mul_f64 v[55:56], v[41:42], s[34:35]
	v_add_f64 v[45:46], v[45:46], v[53:54]
	v_fma_f64 v[57:58], v[51:52], s[12:13], v[55:56]
	v_fma_f64 v[53:54], v[51:52], s[12:13], -v[55:56]
	v_mul_f64 v[55:56], v[43:44], s[4:5]
	v_add_f64 v[57:58], v[57:58], v[63:64]
	v_add_f64 v[53:54], v[53:54], v[61:62]
	v_fma_f64 v[59:60], v[49:50], s[6:7], -v[55:56]
	v_fma_f64 v[55:56], v[49:50], s[6:7], v[55:56]
	v_mul_f64 v[61:62], v[41:42], s[4:5]
	v_add_f64 v[59:60], v[59:60], v[70:71]
	v_add_f64 v[55:56], v[55:56], v[68:69]
	v_mul_f64 v[68:69], v[43:44], s[30:31]
	v_fma_f64 v[63:64], v[51:52], s[6:7], v[61:62]
	v_fma_f64 v[61:62], v[51:52], s[6:7], -v[61:62]
	v_fma_f64 v[70:71], v[49:50], s[28:29], -v[68:69]
	v_fma_f64 v[68:69], v[49:50], s[28:29], v[68:69]
	v_add_f64 v[61:62], v[61:62], v[74:75]
	v_mul_f64 v[74:75], v[41:42], s[30:31]
	v_add_f64 v[63:64], v[63:64], v[77:78]
	v_add_f64 v[70:71], v[70:71], v[81:82]
	;; [unrolled: 1-line block ×3, first 2 shown]
	v_mul_f64 v[79:80], v[43:44], s[36:37]
	v_fma_f64 v[77:78], v[51:52], s[28:29], v[74:75]
	v_fma_f64 v[74:75], v[51:52], s[28:29], -v[74:75]
	v_fma_f64 v[81:82], v[49:50], s[20:21], -v[79:80]
	v_fma_f64 v[79:80], v[49:50], s[20:21], v[79:80]
	v_add_f64 v[74:75], v[74:75], v[83:84]
	v_mul_f64 v[83:84], v[41:42], s[36:37]
	v_add_f64 v[77:78], v[77:78], v[85:86]
	v_add_f64 v[81:82], v[81:82], v[89:90]
	;; [unrolled: 1-line block ×3, first 2 shown]
	v_mul_f64 v[87:88], v[43:44], s[14:15]
	v_fma_f64 v[85:86], v[51:52], s[20:21], v[83:84]
	v_fma_f64 v[83:84], v[51:52], s[20:21], -v[83:84]
	v_mul_f64 v[43:44], v[43:44], s[26:27]
	v_fma_f64 v[89:90], v[49:50], s[0:1], -v[87:88]
	v_fma_f64 v[87:88], v[49:50], s[0:1], v[87:88]
	v_add_f64 v[83:84], v[83:84], v[91:92]
	v_mul_f64 v[91:92], v[41:42], s[14:15]
	v_mul_f64 v[41:42], v[41:42], s[26:27]
	v_add_f64 v[85:86], v[85:86], v[93:94]
	v_add_f64 v[89:90], v[89:90], v[97:98]
	;; [unrolled: 1-line block ×3, first 2 shown]
	v_fma_f64 v[95:96], v[49:50], s[24:25], -v[43:44]
	v_fma_f64 v[43:44], v[49:50], s[24:25], v[43:44]
	v_fma_f64 v[97:98], v[51:52], s[24:25], v[41:42]
	v_fma_f64 v[41:42], v[51:52], s[24:25], -v[41:42]
	v_fma_f64 v[93:94], v[51:52], s[0:1], v[91:92]
	v_fma_f64 v[91:92], v[51:52], s[0:1], -v[91:92]
	v_add_f64 v[95:96], v[95:96], v[103:104]
	v_add_f64 v[29:30], v[43:44], v[29:30]
	;; [unrolled: 1-line block ×3, first 2 shown]
	v_add_f64 v[35:36], v[35:36], -v[39:40]
	v_add_f64 v[31:32], v[41:42], v[31:32]
	v_add_f64 v[41:42], v[33:34], v[37:38]
	v_add_f64 v[33:34], v[33:34], -v[37:38]
	v_add_f64 v[93:94], v[93:94], v[101:102]
	v_add_f64 v[91:92], v[91:92], v[99:100]
	v_add_f64 v[101:102], v[15:16], -v[19:20]
	v_add_f64 v[97:98], v[97:98], v[105:106]
	v_add_f64 v[99:100], v[13:14], -v[17:18]
	v_mul_f64 v[37:38], v[35:36], s[22:23]
	v_fma_f64 v[39:40], v[41:42], s[0:1], -v[37:38]
	v_fma_f64 v[37:38], v[41:42], s[0:1], v[37:38]
	v_add_f64 v[39:40], v[39:40], v[47:48]
	v_mul_f64 v[47:48], v[33:34], s[22:23]
	v_add_f64 v[37:38], v[37:38], v[45:46]
	v_fma_f64 v[49:50], v[43:44], s[0:1], v[47:48]
	v_fma_f64 v[45:46], v[43:44], s[0:1], -v[47:48]
	v_mul_f64 v[47:48], v[35:36], s[30:31]
	v_add_f64 v[49:50], v[49:50], v[57:58]
	v_add_f64 v[45:46], v[45:46], v[53:54]
	v_fma_f64 v[51:52], v[41:42], s[28:29], -v[47:48]
	v_fma_f64 v[47:48], v[41:42], s[28:29], v[47:48]
	v_mul_f64 v[53:54], v[33:34], s[30:31]
	v_add_f64 v[51:52], v[51:52], v[59:60]
	v_add_f64 v[47:48], v[47:48], v[55:56]
	v_mul_f64 v[55:56], v[35:36], s[38:39]
	v_fma_f64 v[57:58], v[43:44], s[28:29], v[53:54]
	v_fma_f64 v[53:54], v[43:44], s[28:29], -v[53:54]
	v_fma_f64 v[59:60], v[41:42], s[6:7], -v[55:56]
	v_fma_f64 v[55:56], v[41:42], s[6:7], v[55:56]
	v_add_f64 v[53:54], v[53:54], v[61:62]
	v_mul_f64 v[61:62], v[33:34], s[38:39]
	v_add_f64 v[57:58], v[57:58], v[63:64]
	v_add_f64 v[59:60], v[59:60], v[70:71]
	;; [unrolled: 1-line block ×3, first 2 shown]
	v_mul_f64 v[68:69], v[35:36], s[26:27]
	v_fma_f64 v[63:64], v[43:44], s[6:7], v[61:62]
	v_fma_f64 v[61:62], v[43:44], s[6:7], -v[61:62]
	v_fma_f64 v[70:71], v[41:42], s[24:25], -v[68:69]
	v_fma_f64 v[68:69], v[41:42], s[24:25], v[68:69]
	v_add_f64 v[61:62], v[61:62], v[74:75]
	v_mul_f64 v[74:75], v[33:34], s[26:27]
	v_add_f64 v[63:64], v[63:64], v[77:78]
	v_add_f64 v[70:71], v[70:71], v[81:82]
	v_add_f64 v[68:69], v[68:69], v[79:80]
	v_mul_f64 v[79:80], v[35:36], s[34:35]
	v_fma_f64 v[77:78], v[43:44], s[24:25], v[74:75]
	v_fma_f64 v[74:75], v[43:44], s[24:25], -v[74:75]
	v_mul_f64 v[35:36], v[35:36], s[18:19]
	v_fma_f64 v[81:82], v[41:42], s[12:13], -v[79:80]
	v_fma_f64 v[79:80], v[41:42], s[12:13], v[79:80]
	v_add_f64 v[74:75], v[74:75], v[83:84]
	v_mul_f64 v[83:84], v[33:34], s[34:35]
	v_mul_f64 v[33:34], v[33:34], s[18:19]
	v_add_f64 v[77:78], v[77:78], v[85:86]
	v_add_f64 v[81:82], v[81:82], v[89:90]
	;; [unrolled: 1-line block ×3, first 2 shown]
	v_fma_f64 v[87:88], v[41:42], s[20:21], -v[35:36]
	v_fma_f64 v[35:36], v[41:42], s[20:21], v[35:36]
	v_fma_f64 v[89:90], v[43:44], s[20:21], v[33:34]
	v_fma_f64 v[33:34], v[43:44], s[20:21], -v[33:34]
	v_fma_f64 v[85:86], v[43:44], s[12:13], v[83:84]
	v_fma_f64 v[83:84], v[43:44], s[12:13], -v[83:84]
	v_add_f64 v[87:88], v[87:88], v[95:96]
	v_add_f64 v[29:30], v[35:36], v[29:30]
	;; [unrolled: 1-line block ×3, first 2 shown]
	v_add_f64 v[23:24], v[23:24], -v[27:28]
	v_add_f64 v[31:32], v[33:34], v[31:32]
	v_add_f64 v[33:34], v[21:22], v[25:26]
	v_add_f64 v[21:22], v[21:22], -v[25:26]
	v_add_f64 v[83:84], v[83:84], v[91:92]
	v_add_f64 v[95:96], v[13:14], v[17:18]
	v_mul_f64 v[13:14], v[101:102], s[18:19]
	v_add_f64 v[89:90], v[89:90], v[97:98]
	v_add_f64 v[97:98], v[15:16], v[19:20]
	;; [unrolled: 1-line block ×3, first 2 shown]
	v_mul_f64 v[25:26], v[23:24], s[4:5]
	v_fma_f64 v[15:16], v[95:96], s[20:21], -v[13:14]
	v_fma_f64 v[13:14], v[95:96], s[20:21], v[13:14]
	v_fma_f64 v[27:28], v[33:34], s[6:7], -v[25:26]
	v_fma_f64 v[25:26], v[33:34], s[6:7], v[25:26]
	v_add_f64 v[27:28], v[27:28], v[39:40]
	v_mul_f64 v[39:40], v[21:22], s[4:5]
	v_add_f64 v[25:26], v[25:26], v[37:38]
	v_fma_f64 v[37:38], v[35:36], s[6:7], -v[39:40]
	v_fma_f64 v[41:42], v[35:36], s[6:7], v[39:40]
	v_mul_f64 v[39:40], v[23:24], s[36:37]
	v_add_f64 v[13:14], v[13:14], v[25:26]
	v_mul_f64 v[25:26], v[101:102], s[34:35]
	v_add_f64 v[37:38], v[37:38], v[45:46]
	;; [unrolled: 2-line block ×3, first 2 shown]
	v_fma_f64 v[43:44], v[33:34], s[20:21], -v[39:40]
	v_fma_f64 v[39:40], v[33:34], s[20:21], v[39:40]
	s_mov_b32 s37, 0x3fcea1e5
	s_mov_b32 s36, s30
	v_fma_f64 v[49:50], v[35:36], s[20:21], v[45:46]
	v_fma_f64 v[45:46], v[35:36], s[20:21], -v[45:46]
	v_add_f64 v[43:44], v[43:44], v[51:52]
	v_add_f64 v[39:40], v[39:40], v[47:48]
	v_mul_f64 v[47:48], v[23:24], s[26:27]
	v_add_f64 v[49:50], v[49:50], v[57:58]
	v_add_f64 v[45:46], v[45:46], v[53:54]
	v_mul_f64 v[53:54], v[21:22], s[26:27]
	v_fma_f64 v[51:52], v[33:34], s[24:25], -v[47:48]
	v_fma_f64 v[47:48], v[33:34], s[24:25], v[47:48]
	v_fma_f64 v[57:58], v[35:36], s[24:25], v[53:54]
	v_fma_f64 v[53:54], v[35:36], s[24:25], -v[53:54]
	v_add_f64 v[51:52], v[51:52], v[59:60]
	v_add_f64 v[47:48], v[47:48], v[55:56]
	;; [unrolled: 1-line block ×4, first 2 shown]
	v_mul_f64 v[53:54], v[23:24], s[22:23]
	v_add_f64 v[63:64], v[15:16], v[27:28]
	v_mul_f64 v[15:16], v[99:100], s[18:19]
	v_mul_f64 v[27:28], v[99:100], s[34:35]
	v_fma_f64 v[55:56], v[33:34], s[0:1], -v[53:54]
	v_fma_f64 v[53:54], v[33:34], s[0:1], v[53:54]
	v_fma_f64 v[17:18], v[97:98], s[20:21], v[15:16]
	v_fma_f64 v[15:16], v[97:98], s[20:21], -v[15:16]
	v_add_f64 v[70:71], v[55:56], v[70:71]
	v_mul_f64 v[55:56], v[21:22], s[22:23]
	v_add_f64 v[68:69], v[53:54], v[68:69]
	s_mov_b32 s23, 0x3fea55e2
	s_mov_b32 s22, s34
	v_add_f64 v[15:16], v[15:16], v[37:38]
	v_fma_f64 v[53:54], v[35:36], s[0:1], -v[55:56]
	v_fma_f64 v[61:62], v[35:36], s[0:1], v[55:56]
	v_add_f64 v[74:75], v[53:54], v[74:75]
	v_mul_f64 v[53:54], v[23:24], s[36:37]
	v_mul_f64 v[23:24], v[23:24], s[22:23]
	v_add_f64 v[77:78], v[61:62], v[77:78]
	v_fma_f64 v[55:56], v[33:34], s[28:29], -v[53:54]
	v_fma_f64 v[53:54], v[33:34], s[28:29], v[53:54]
	v_add_f64 v[81:82], v[55:56], v[81:82]
	v_mul_f64 v[55:56], v[21:22], s[36:37]
	v_add_f64 v[79:80], v[53:54], v[79:80]
	v_mul_f64 v[21:22], v[21:22], s[22:23]
	v_fma_f64 v[53:54], v[35:36], s[28:29], -v[55:56]
	v_fma_f64 v[61:62], v[35:36], s[28:29], v[55:56]
	v_add_f64 v[83:84], v[53:54], v[83:84]
	v_fma_f64 v[53:54], v[33:34], s[12:13], -v[23:24]
	v_fma_f64 v[23:24], v[33:34], s[12:13], v[23:24]
	v_mul_f64 v[33:34], v[101:102], s[36:37]
	v_add_f64 v[85:86], v[61:62], v[85:86]
	v_add_f64 v[61:62], v[17:18], v[41:42]
	v_mul_f64 v[41:42], v[101:102], s[26:27]
	v_add_f64 v[87:88], v[53:54], v[87:88]
	v_fma_f64 v[53:54], v[35:36], s[12:13], v[21:22]
	v_fma_f64 v[21:22], v[35:36], s[12:13], -v[21:22]
	v_add_f64 v[91:92], v[23:24], v[29:30]
	v_mul_f64 v[23:24], v[99:100], s[14:15]
	v_fma_f64 v[29:30], v[95:96], s[28:29], -v[33:34]
	v_fma_f64 v[33:34], v[95:96], s[28:29], v[33:34]
	v_mul_f64 v[35:36], v[99:100], s[36:37]
	v_fma_f64 v[37:38], v[95:96], s[24:25], -v[41:42]
	v_fma_f64 v[41:42], v[95:96], s[24:25], v[41:42]
	v_add_f64 v[89:90], v[53:54], v[89:90]
	v_add_f64 v[93:94], v[21:22], v[31:32]
	v_mul_f64 v[21:22], v[101:102], s[14:15]
	v_fma_f64 v[19:20], v[97:98], s[0:1], v[23:24]
	v_add_f64 v[29:30], v[29:30], v[70:71]
	v_add_f64 v[33:34], v[33:34], v[68:69]
	v_add_f64 v[68:69], v[5:6], -v[9:10]
	v_add_f64 v[70:71], v[7:8], -v[11:12]
	v_fma_f64 v[31:32], v[97:98], s[28:29], v[35:36]
	v_fma_f64 v[35:36], v[97:98], s[28:29], -v[35:36]
	v_add_f64 v[37:38], v[37:38], v[81:82]
	v_add_f64 v[41:42], v[41:42], v[79:80]
	v_fma_f64 v[17:18], v[95:96], s[0:1], -v[21:22]
	v_fma_f64 v[21:22], v[95:96], s[0:1], v[21:22]
	v_add_f64 v[19:20], v[19:20], v[49:50]
	v_mul_f64 v[49:50], v[101:102], s[4:5]
	v_add_f64 v[31:32], v[31:32], v[77:78]
	v_add_f64 v[35:36], v[35:36], v[74:75]
	;; [unrolled: 1-line block ×4, first 2 shown]
	v_fma_f64 v[21:22], v[97:98], s[0:1], -v[23:24]
	v_fma_f64 v[23:24], v[97:98], s[12:13], v[27:28]
	v_fma_f64 v[27:28], v[97:98], s[12:13], -v[27:28]
	v_mul_f64 v[43:44], v[99:100], s[26:27]
	v_add_f64 v[55:56], v[21:22], v[45:46]
	v_add_f64 v[23:24], v[23:24], v[57:58]
	;; [unrolled: 1-line block ×5, first 2 shown]
	v_mul_f64 v[9:10], v[70:71], s[30:31]
	v_mul_f64 v[11:12], v[68:69], s[30:31]
	v_fma_f64 v[21:22], v[95:96], s[12:13], -v[25:26]
	v_fma_f64 v[25:26], v[95:96], s[12:13], v[25:26]
	v_fma_f64 v[39:40], v[97:98], s[24:25], v[43:44]
	v_fma_f64 v[43:44], v[97:98], s[24:25], -v[43:44]
	v_fma_f64 v[45:46], v[95:96], s[6:7], -v[49:50]
	v_fma_f64 v[49:50], v[95:96], s[6:7], v[49:50]
	v_fma_f64 v[5:6], v[59:60], s[28:29], -v[9:10]
	v_fma_f64 v[7:8], v[57:58], s[28:29], v[11:12]
	v_fma_f64 v[9:10], v[59:60], s[28:29], v[9:10]
	v_add_f64 v[21:22], v[21:22], v[51:52]
	v_add_f64 v[25:26], v[25:26], v[47:48]
	;; [unrolled: 1-line block ×4, first 2 shown]
	v_mul_f64 v[51:52], v[99:100], s[4:5]
	v_add_f64 v[39:40], v[39:40], v[85:86]
	v_add_f64 v[49:50], v[49:50], v[91:92]
	;; [unrolled: 1-line block ×5, first 2 shown]
	v_fma_f64 v[9:10], v[57:58], s[28:29], -v[11:12]
	v_mul_f64 v[61:62], v[70:71], s[26:27]
	v_mul_f64 v[63:64], v[68:69], s[26:27]
	v_fma_f64 v[47:48], v[97:98], s[6:7], v[51:52]
	v_fma_f64 v[51:52], v[97:98], s[6:7], -v[51:52]
	v_add_f64 v[15:16], v[9:10], v[15:16]
	v_fma_f64 v[9:10], v[59:60], s[24:25], -v[61:62]
	v_fma_f64 v[11:12], v[57:58], s[24:25], v[63:64]
	v_add_f64 v[47:48], v[47:48], v[89:90]
	v_add_f64 v[51:52], v[51:52], v[93:94]
	;; [unrolled: 1-line block ×3, first 2 shown]
	v_fma_f64 v[17:18], v[59:60], s[24:25], v[61:62]
	v_add_f64 v[11:12], v[11:12], v[19:20]
	v_fma_f64 v[19:20], v[57:58], s[24:25], -v[63:64]
                                        ; implicit-def: $vgpr63_vgpr64
	v_add_f64 v[17:18], v[17:18], v[53:54]
	v_mul_f64 v[53:54], v[70:71], s[18:19]
	v_add_f64 v[19:20], v[19:20], v[55:56]
	v_fma_f64 v[55:56], v[59:60], s[20:21], -v[53:54]
	v_fma_f64 v[53:54], v[59:60], s[20:21], v[53:54]
	v_add_f64 v[21:22], v[55:56], v[21:22]
	v_mul_f64 v[55:56], v[68:69], s[18:19]
	v_add_f64 v[25:26], v[53:54], v[25:26]
	v_fma_f64 v[53:54], v[57:58], s[20:21], -v[55:56]
	v_fma_f64 v[61:62], v[57:58], s[20:21], v[55:56]
	;; [unrolled: 5-line block ×7, first 2 shown]
                                        ; implicit-def: $vgpr59_vgpr60
	v_add_f64 v[45:46], v[55:56], v[45:46]
	v_mul_f64 v[55:56], v[68:69], s[14:15]
	v_add_f64 v[49:50], v[53:54], v[49:50]
	v_fma_f64 v[61:62], v[57:58], s[0:1], v[55:56]
	v_fma_f64 v[53:54], v[57:58], s[0:1], -v[55:56]
	s_mov_b32 s1, exec_lo
                                        ; implicit-def: $vgpr55_vgpr56
	v_add_f64 v[47:48], v[61:62], v[47:48]
	v_add_f64 v[51:52], v[53:54], v[51:52]
	v_mad_u32_u24 v53, 0x750, v72, 0
	v_lshl_add_u32 v54, v73, 4, v53
	ds_write_b128 v54, v[1:4]
	ds_write_b128 v54, v[5:8] offset:144
	ds_write_b128 v54, v[9:12] offset:288
	;; [unrolled: 1-line block ×12, first 2 shown]
	s_waitcnt lgkmcnt(0)
	s_barrier
	buffer_gl0_inv
	v_cmpx_gt_u32_e32 0x75, v0
	s_cbranch_execz .LBB0_17
; %bb.16:
	v_mul_i32_i24_e32 v1, 0xfffff940, v72
	v_lshlrev_b32_e32 v2, 4, v73
	v_add3_u32 v61, v53, v1, v2
	ds_read_b128 v[1:4], v61
	ds_read_b128 v[5:8], v61 offset:1872
	ds_read_b128 v[9:12], v61 offset:3744
	ds_read_b128 v[21:24], v61 offset:5616
	ds_read_b128 v[29:32], v61 offset:7488
	ds_read_b128 v[37:40], v61 offset:9360
	ds_read_b128 v[45:48], v61 offset:11232
	ds_read_b128 v[49:52], v61 offset:13104
	ds_read_b128 v[41:44], v61 offset:14976
	ds_read_b128 v[33:36], v61 offset:16848
	ds_read_b128 v[25:28], v61 offset:18720
	ds_read_b128 v[17:20], v61 offset:20592
	ds_read_b128 v[13:16], v61 offset:22464
	ds_read_b128 v[53:56], v61 offset:24336
	ds_read_b128 v[57:60], v61 offset:26208
	ds_read_b128 v[61:64], v61 offset:28080
.LBB0_17:
	s_or_b32 exec_lo, exec_lo, s1
	v_mul_hi_u32 v66, 0x13b13b14, v72
	s_mov_b32 s0, 0x667f3bcd
	s_mov_b32 s1, 0xbfe6a09e
	;; [unrolled: 1-line block ×7, first 2 shown]
	v_mul_u32_u24_e32 v66, 13, v66
	s_mov_b32 s12, s6
	s_mov_b32 s15, 0x3fed906b
	;; [unrolled: 1-line block ×3, first 2 shown]
	v_sub_nc_u32_e32 v77, v72, v66
	v_mul_u32_u24_e32 v66, 15, v77
	v_lshlrev_b32_e32 v66, 4, v66
	s_clause 0x3
	global_load_dwordx4 v[68:71], v66, s[2:3] offset:48
	global_load_dwordx4 v[72:75], v66, s[2:3] offset:32
	;; [unrolled: 1-line block ×3, first 2 shown]
	global_load_dwordx4 v[82:85], v66, s[2:3]
	s_waitcnt vmcnt(0) lgkmcnt(14)
	v_mul_f64 v[86:87], v[7:8], v[84:85]
	v_fma_f64 v[86:87], v[5:6], v[82:83], -v[86:87]
	v_mul_f64 v[5:6], v[5:6], v[84:85]
	v_fma_f64 v[82:83], v[7:8], v[82:83], v[5:6]
	s_waitcnt lgkmcnt(13)
	v_mul_f64 v[5:6], v[11:12], v[80:81]
	v_fma_f64 v[84:85], v[9:10], v[78:79], -v[5:6]
	v_mul_f64 v[5:6], v[9:10], v[80:81]
	v_fma_f64 v[78:79], v[11:12], v[78:79], v[5:6]
	s_waitcnt lgkmcnt(12)
	v_mul_f64 v[5:6], v[23:24], v[74:75]
	v_fma_f64 v[80:81], v[21:22], v[72:73], -v[5:6]
	v_mul_f64 v[5:6], v[21:22], v[74:75]
	v_fma_f64 v[72:73], v[23:24], v[72:73], v[5:6]
	s_waitcnt lgkmcnt(11)
	v_mul_f64 v[5:6], v[31:32], v[70:71]
	v_fma_f64 v[74:75], v[29:30], v[68:69], -v[5:6]
	v_mul_f64 v[5:6], v[29:30], v[70:71]
	v_fma_f64 v[68:69], v[31:32], v[68:69], v[5:6]
	s_clause 0x3
	global_load_dwordx4 v[5:8], v66, s[2:3] offset:112
	global_load_dwordx4 v[9:12], v66, s[2:3] offset:96
	;; [unrolled: 1-line block ×4, first 2 shown]
	s_waitcnt vmcnt(0) lgkmcnt(10)
	v_mul_f64 v[70:71], v[39:40], v[31:32]
	v_mul_f64 v[31:32], v[37:38], v[31:32]
	v_fma_f64 v[70:71], v[37:38], v[29:30], -v[70:71]
	v_fma_f64 v[37:38], v[39:40], v[29:30], v[31:32]
	s_waitcnt lgkmcnt(9)
	v_mul_f64 v[29:30], v[47:48], v[23:24]
	v_mul_f64 v[23:24], v[45:46], v[23:24]
	v_fma_f64 v[39:40], v[45:46], v[21:22], -v[29:30]
	v_fma_f64 v[45:46], v[47:48], v[21:22], v[23:24]
	s_waitcnt lgkmcnt(8)
	;; [unrolled: 5-line block ×3, first 2 shown]
	v_mul_f64 v[9:10], v[43:44], v[7:8]
	v_mul_f64 v[7:8], v[41:42], v[7:8]
	v_fma_f64 v[51:52], v[41:42], v[5:6], -v[9:10]
	v_fma_f64 v[41:42], v[43:44], v[5:6], v[7:8]
	s_clause 0x3
	global_load_dwordx4 v[5:8], v66, s[2:3] offset:176
	global_load_dwordx4 v[9:12], v66, s[2:3] offset:160
	;; [unrolled: 1-line block ×4, first 2 shown]
	s_waitcnt vmcnt(0) lgkmcnt(6)
	v_mul_f64 v[43:44], v[35:36], v[31:32]
	v_mul_f64 v[31:32], v[33:34], v[31:32]
	v_fma_f64 v[43:44], v[33:34], v[29:30], -v[43:44]
	v_fma_f64 v[29:30], v[35:36], v[29:30], v[31:32]
	s_waitcnt lgkmcnt(5)
	v_mul_f64 v[31:32], v[27:28], v[23:24]
	v_mul_f64 v[23:24], v[25:26], v[23:24]
	v_add_f64 v[33:34], v[3:4], -v[41:42]
	v_add_f64 v[43:44], v[86:87], -v[43:44]
	;; [unrolled: 1-line block ×3, first 2 shown]
	v_fma_f64 v[31:32], v[25:26], v[21:22], -v[31:32]
	v_fma_f64 v[21:22], v[27:28], v[21:22], v[23:24]
	s_waitcnt lgkmcnt(4)
	v_mul_f64 v[23:24], v[19:20], v[11:12]
	v_mul_f64 v[11:12], v[17:18], v[11:12]
	v_fma_f64 v[3:4], v[3:4], 2.0, -v[33:34]
	v_add_f64 v[31:32], v[84:85], -v[31:32]
	v_add_f64 v[21:22], v[78:79], -v[21:22]
	v_fma_f64 v[23:24], v[17:18], v[9:10], -v[23:24]
	v_fma_f64 v[17:18], v[19:20], v[9:10], v[11:12]
	s_waitcnt lgkmcnt(3)
	v_mul_f64 v[9:10], v[15:16], v[7:8]
	v_mul_f64 v[7:8], v[13:14], v[7:8]
	v_add_f64 v[23:24], v[80:81], -v[23:24]
	v_add_f64 v[17:18], v[72:73], -v[17:18]
	v_fma_f64 v[19:20], v[13:14], v[5:6], -v[9:10]
	v_fma_f64 v[25:26], v[15:16], v[5:6], v[7:8]
	s_clause 0x2
	global_load_dwordx4 v[5:8], v66, s[2:3] offset:224
	global_load_dwordx4 v[9:12], v66, s[2:3] offset:208
	;; [unrolled: 1-line block ×3, first 2 shown]
	s_mov_b32 s3, 0x3fe6a09e
	s_mov_b32 s2, s0
	v_mul_lo_u32 v66, v77, v67
	v_add_f64 v[19:20], v[74:75], -v[19:20]
	v_add_f64 v[25:26], v[68:69], -v[25:26]
	v_fma_f64 v[35:36], v[74:75], 2.0, -v[19:20]
	v_fma_f64 v[41:42], v[68:69], 2.0, -v[25:26]
	v_add_f64 v[19:20], v[33:34], v[19:20]
	v_add_f64 v[41:42], v[3:4], -v[41:42]
	v_fma_f64 v[33:34], v[33:34], 2.0, -v[19:20]
	v_fma_f64 v[3:4], v[3:4], 2.0, -v[41:42]
	s_waitcnt vmcnt(0) lgkmcnt(2)
	v_mul_f64 v[27:28], v[55:56], v[15:16]
	v_mul_f64 v[15:16], v[53:54], v[15:16]
	v_fma_f64 v[27:28], v[53:54], v[13:14], -v[27:28]
	v_fma_f64 v[13:14], v[55:56], v[13:14], v[15:16]
	s_waitcnt lgkmcnt(1)
	v_mul_f64 v[15:16], v[59:60], v[11:12]
	v_mul_f64 v[11:12], v[57:58], v[11:12]
	v_fma_f64 v[53:54], v[78:79], 2.0, -v[21:22]
	v_fma_f64 v[55:56], v[86:87], 2.0, -v[43:44]
	v_add_f64 v[27:28], v[70:71], -v[27:28]
	v_add_f64 v[13:14], v[37:38], -v[13:14]
	v_fma_f64 v[15:16], v[57:58], v[9:10], -v[15:16]
	v_fma_f64 v[9:10], v[59:60], v[9:10], v[11:12]
	s_waitcnt lgkmcnt(0)
	v_mul_f64 v[11:12], v[63:64], v[7:8]
	v_mul_f64 v[7:8], v[61:62], v[7:8]
	v_fma_f64 v[57:58], v[82:83], 2.0, -v[29:30]
	v_fma_f64 v[59:60], v[70:71], 2.0, -v[27:28]
	;; [unrolled: 1-line block ×3, first 2 shown]
	v_add_f64 v[15:16], v[39:40], -v[15:16]
	v_add_f64 v[9:10], v[45:46], -v[9:10]
	v_fma_f64 v[11:12], v[61:62], v[5:6], -v[11:12]
	v_fma_f64 v[5:6], v[63:64], v[5:6], v[7:8]
	v_add_f64 v[7:8], v[1:2], -v[51:52]
	v_fma_f64 v[51:52], v[84:85], 2.0, -v[31:32]
	v_fma_f64 v[61:62], v[80:81], 2.0, -v[23:24]
	;; [unrolled: 1-line block ×3, first 2 shown]
	v_add_f64 v[13:14], v[43:44], -v[13:14]
	v_add_f64 v[27:28], v[29:30], v[27:28]
	v_add_f64 v[59:60], v[55:56], -v[59:60]
	v_add_f64 v[37:38], v[57:58], -v[37:38]
	v_fma_f64 v[39:40], v[39:40], 2.0, -v[15:16]
	v_fma_f64 v[45:46], v[45:46], 2.0, -v[9:10]
	v_add_f64 v[15:16], v[21:22], v[15:16]
	v_add_f64 v[9:10], v[31:32], -v[9:10]
	v_fma_f64 v[1:2], v[1:2], 2.0, -v[7:8]
	v_add_f64 v[25:26], v[7:8], -v[25:26]
	v_add_f64 v[11:12], v[47:48], -v[11:12]
	;; [unrolled: 1-line block ×3, first 2 shown]
	v_fma_f64 v[43:44], v[43:44], 2.0, -v[13:14]
	v_fma_f64 v[29:30], v[29:30], 2.0, -v[27:28]
	;; [unrolled: 1-line block ×4, first 2 shown]
	v_add_f64 v[39:40], v[51:52], -v[39:40]
	v_add_f64 v[45:46], v[53:54], -v[45:46]
	v_fma_f64 v[21:22], v[21:22], 2.0, -v[15:16]
	v_fma_f64 v[31:32], v[31:32], 2.0, -v[9:10]
	v_add_f64 v[35:36], v[1:2], -v[35:36]
	v_fma_f64 v[7:8], v[7:8], 2.0, -v[25:26]
	v_fma_f64 v[47:48], v[47:48], 2.0, -v[11:12]
	;; [unrolled: 1-line block ×3, first 2 shown]
	v_add_f64 v[5:6], v[23:24], -v[5:6]
	v_add_f64 v[11:12], v[17:18], v[11:12]
	v_fma_f64 v[51:52], v[51:52], 2.0, -v[39:40]
	v_fma_f64 v[53:54], v[53:54], 2.0, -v[45:46]
	v_add_f64 v[74:75], v[41:42], v[39:40]
	v_fma_f64 v[1:2], v[1:2], 2.0, -v[35:36]
	v_add_f64 v[47:48], v[61:62], -v[47:48]
	v_add_f64 v[49:50], v[63:64], -v[49:50]
	v_fma_f64 v[23:24], v[23:24], 2.0, -v[5:6]
	v_fma_f64 v[17:18], v[17:18], 2.0, -v[11:12]
	v_add_f64 v[70:71], v[3:4], -v[53:54]
	v_fma_f64 v[53:54], v[21:22], s[0:1], v[33:34]
	v_fma_f64 v[78:79], v[41:42], 2.0, -v[74:75]
	v_add_f64 v[68:69], v[1:2], -v[51:52]
	v_fma_f64 v[61:62], v[61:62], 2.0, -v[47:48]
	v_fma_f64 v[63:64], v[63:64], 2.0, -v[49:50]
	v_add_f64 v[84:85], v[37:38], v[47:48]
	v_fma_f64 v[39:40], v[17:18], s[0:1], v[29:30]
	v_fma_f64 v[51:52], v[3:4], 2.0, -v[70:71]
	v_fma_f64 v[3:4], v[31:32], s[0:1], v[7:8]
	v_fma_f64 v[31:32], v[31:32], s[2:3], v[53:54]
	v_fma_f64 v[1:2], v[1:2], 2.0, -v[68:69]
	v_fma_f64 v[72:73], v[21:22], s[0:1], v[3:4]
	v_fma_f64 v[21:22], v[33:34], 2.0, -v[31:32]
	v_add_f64 v[33:34], v[35:36], -v[45:46]
	v_fma_f64 v[3:4], v[9:10], s[2:3], v[25:26]
	v_fma_f64 v[7:8], v[7:8], 2.0, -v[72:73]
	v_fma_f64 v[53:54], v[35:36], 2.0, -v[33:34]
	v_fma_f64 v[35:36], v[15:16], s[2:3], v[19:20]
	v_fma_f64 v[80:81], v[15:16], s[0:1], v[3:4]
	;; [unrolled: 1-line block ×3, first 2 shown]
	v_fma_f64 v[15:16], v[25:26], 2.0, -v[80:81]
	v_add_f64 v[25:26], v[55:56], -v[61:62]
	v_add_f64 v[61:62], v[57:58], -v[63:64]
	v_fma_f64 v[35:36], v[23:24], s[0:1], v[43:44]
	v_fma_f64 v[23:24], v[23:24], s[2:3], v[39:40]
	v_add_f64 v[63:64], v[59:60], -v[49:50]
	v_fma_f64 v[19:20], v[19:20], 2.0, -v[82:83]
	v_fma_f64 v[3:4], v[55:56], 2.0, -v[25:26]
	;; [unrolled: 1-line block ×3, first 2 shown]
	v_fma_f64 v[57:58], v[17:18], s[0:1], v[35:36]
	v_fma_f64 v[35:36], v[5:6], s[2:3], v[13:14]
	v_fma_f64 v[29:30], v[29:30], 2.0, -v[23:24]
	v_fma_f64 v[45:46], v[59:60], 2.0, -v[63:64]
	;; [unrolled: 1-line block ×3, first 2 shown]
	v_fma_f64 v[86:87], v[11:12], s[0:1], v[35:36]
	v_add_f64 v[35:36], v[1:2], -v[3:4]
	v_fma_f64 v[43:44], v[37:38], 2.0, -v[84:85]
	v_fma_f64 v[37:38], v[11:12], s[2:3], v[27:28]
	v_fma_f64 v[49:50], v[13:14], 2.0, -v[86:87]
	v_fma_f64 v[3:4], v[1:2], 2.0, -v[35:36]
	v_fma_f64 v[1:2], v[17:18], s[4:5], v[7:8]
	v_fma_f64 v[88:89], v[5:6], s[2:3], v[37:38]
	;; [unrolled: 1-line block ×3, first 2 shown]
	v_add_f64 v[37:38], v[51:52], -v[9:10]
	v_fma_f64 v[9:10], v[29:30], s[4:5], v[21:22]
	v_fma_f64 v[39:40], v[29:30], s[6:7], v[1:2]
	;; [unrolled: 1-line block ×3, first 2 shown]
	v_fma_f64 v[27:28], v[27:28], 2.0, -v[88:89]
	v_fma_f64 v[45:46], v[45:46], s[2:3], v[11:12]
	v_fma_f64 v[41:42], v[17:18], s[12:13], v[9:10]
	v_fma_f64 v[5:6], v[51:52], 2.0, -v[37:38]
	v_add_f64 v[51:52], v[68:69], -v[61:62]
	v_fma_f64 v[7:8], v[7:8], 2.0, -v[39:40]
	v_fma_f64 v[43:44], v[43:44], s[0:1], v[1:2]
	v_fma_f64 v[1:2], v[49:50], s[6:7], v[15:16]
	;; [unrolled: 1-line block ×3, first 2 shown]
	v_fma_f64 v[9:10], v[21:22], 2.0, -v[41:42]
	v_fma_f64 v[13:14], v[78:79], 2.0, -v[45:46]
	;; [unrolled: 1-line block ×3, first 2 shown]
	v_fma_f64 v[47:48], v[27:28], s[4:5], v[1:2]
	v_fma_f64 v[1:2], v[57:58], s[12:13], v[72:73]
	v_add_f64 v[53:54], v[70:71], v[25:26]
	v_fma_f64 v[25:26], v[23:24], s[12:13], v[31:32]
	v_fma_f64 v[27:28], v[84:85], s[2:3], v[74:75]
	;; [unrolled: 1-line block ×3, first 2 shown]
	v_fma_f64 v[15:16], v[15:16], 2.0, -v[47:48]
	v_fma_f64 v[55:56], v[23:24], s[4:5], v[1:2]
	v_fma_f64 v[1:2], v[63:64], s[2:3], v[33:34]
	;; [unrolled: 1-line block ×4, first 2 shown]
	v_fma_f64 v[17:18], v[19:20], 2.0, -v[49:50]
	v_fma_f64 v[19:20], v[68:69], 2.0, -v[51:52]
	v_fma_f64 v[21:22], v[70:71], 2.0, -v[53:54]
	v_fma_f64 v[23:24], v[72:73], 2.0, -v[55:56]
	v_fma_f64 v[59:60], v[84:85], s[0:1], v[1:2]
	v_fma_f64 v[1:2], v[86:87], s[14:15], v[80:81]
	v_fma_f64 v[25:26], v[31:32], 2.0, -v[57:58]
	v_fma_f64 v[31:32], v[88:89], s[14:15], v[82:83]
	v_fma_f64 v[29:30], v[74:75], 2.0, -v[61:62]
	s_add_i32 s0, 0, 0x7500
	v_cmp_lt_u32_e64 s1, 0x74, v0
	s_or_b32 s1, s1, s17
	v_fma_f64 v[27:28], v[33:34], 2.0, -v[59:60]
	v_fma_f64 v[68:69], v[88:89], s[6:7], v[1:2]
	v_and_b32_e32 v1, 31, v66
	v_fma_f64 v[70:71], v[86:87], s[12:13], v[31:32]
	v_lshl_add_u32 v1, v1, 4, 0
	ds_read_b128 v[72:75], v1 offset:29952
	v_lshrrev_b32_e32 v1, 1, v66
	v_and_b32_e32 v1, 0x1f0, v1
	v_add_nc_u32_e32 v1, s0, v1
	v_fma_f64 v[31:32], v[80:81], 2.0, -v[68:69]
	v_fma_f64 v[33:34], v[82:83], 2.0, -v[70:71]
	ds_read_b128 v[78:81], v1 offset:512
	s_waitcnt lgkmcnt(0)
	v_mul_f64 v[1:2], v[74:75], v[80:81]
	v_mul_f64 v[63:64], v[72:73], v[80:81]
	v_fma_f64 v[1:2], v[72:73], v[78:79], -v[1:2]
	v_lshrrev_b32_e32 v72, 6, v66
	v_fma_f64 v[63:64], v[74:75], v[78:79], v[63:64]
	v_and_b32_e32 v72, 0x1f0, v72
	v_add_nc_u32_e32 v72, s0, v72
	ds_read_b128 v[72:75], v72 offset:1024
	s_waitcnt lgkmcnt(0)
	v_mul_f64 v[78:79], v[63:64], v[74:75]
	v_fma_f64 v[78:79], v[72:73], v[1:2], -v[78:79]
	v_mul_f64 v[1:2], v[1:2], v[74:75]
	v_fma_f64 v[63:64], v[72:73], v[63:64], v[1:2]
	v_mul_f64 v[1:2], v[63:64], v[5:6]
	v_fma_f64 v[1:2], v[78:79], v[3:4], -v[1:2]
	v_mul_f64 v[3:4], v[63:64], v[3:4]
	v_mul_lo_u32 v63, v67, 13
	v_add_nc_u32_e32 v64, v66, v63
	v_fma_f64 v[3:4], v[78:79], v[5:6], v[3:4]
	v_and_b32_e32 v5, 31, v64
	v_lshl_add_u32 v5, v5, 4, 0
	ds_read_b128 v[72:75], v5 offset:29952
	v_lshrrev_b32_e32 v5, 1, v64
	v_and_b32_e32 v5, 0x1f0, v5
	v_add_nc_u32_e32 v5, s0, v5
	ds_read_b128 v[78:81], v5 offset:512
	s_waitcnt lgkmcnt(0)
	v_mul_f64 v[5:6], v[74:75], v[80:81]
	v_mul_f64 v[66:67], v[72:73], v[80:81]
	v_fma_f64 v[5:6], v[72:73], v[78:79], -v[5:6]
	v_lshrrev_b32_e32 v72, 6, v64
	v_fma_f64 v[66:67], v[74:75], v[78:79], v[66:67]
	v_add_nc_u32_e32 v64, v64, v63
	v_and_b32_e32 v72, 0x1f0, v72
	v_add_nc_u32_e32 v72, s0, v72
	ds_read_b128 v[72:75], v72 offset:1024
	s_waitcnt lgkmcnt(0)
	v_mul_f64 v[78:79], v[66:67], v[74:75]
	v_fma_f64 v[78:79], v[72:73], v[5:6], -v[78:79]
	v_mul_f64 v[5:6], v[5:6], v[74:75]
	v_fma_f64 v[66:67], v[72:73], v[66:67], v[5:6]
	v_mul_f64 v[5:6], v[9:10], v[66:67]
	v_fma_f64 v[5:6], v[7:8], v[78:79], -v[5:6]
	v_mul_f64 v[7:8], v[7:8], v[66:67]
	v_fma_f64 v[7:8], v[9:10], v[78:79], v[7:8]
	v_and_b32_e32 v9, 31, v64
	v_lshl_add_u32 v9, v9, 4, 0
	ds_read_b128 v[72:75], v9 offset:29952
	v_lshrrev_b32_e32 v9, 1, v64
	v_and_b32_e32 v9, 0x1f0, v9
	v_add_nc_u32_e32 v9, s0, v9
	ds_read_b128 v[78:81], v9 offset:512
	s_waitcnt lgkmcnt(0)
	v_mul_f64 v[9:10], v[74:75], v[80:81]
	v_mul_f64 v[66:67], v[72:73], v[80:81]
	v_fma_f64 v[9:10], v[72:73], v[78:79], -v[9:10]
	v_lshrrev_b32_e32 v72, 6, v64
	v_fma_f64 v[66:67], v[74:75], v[78:79], v[66:67]
	v_add_nc_u32_e32 v64, v64, v63
	v_and_b32_e32 v72, 0x1f0, v72
	v_add_nc_u32_e32 v72, s0, v72
	ds_read_b128 v[72:75], v72 offset:1024
	s_waitcnt lgkmcnt(0)
	v_mul_f64 v[78:79], v[66:67], v[74:75]
	v_fma_f64 v[78:79], v[72:73], v[9:10], -v[78:79]
	v_mul_f64 v[9:10], v[9:10], v[74:75]
	v_fma_f64 v[66:67], v[72:73], v[66:67], v[9:10]
	v_mul_f64 v[9:10], v[13:14], v[66:67]
	v_fma_f64 v[9:10], v[11:12], v[78:79], -v[9:10]
	v_mul_f64 v[11:12], v[11:12], v[66:67]
	;; [unrolled: 26-line block ×13, first 2 shown]
	v_fma_f64 v[55:56], v[57:58], v[78:79], v[55:56]
	v_and_b32_e32 v57, 31, v64
	v_lshl_add_u32 v57, v57, 4, 0
	ds_read_b128 v[72:75], v57 offset:29952
	v_lshrrev_b32_e32 v57, 1, v64
	v_and_b32_e32 v57, 0x1f0, v57
	v_add_nc_u32_e32 v57, s0, v57
	ds_read_b128 v[78:81], v57 offset:512
	s_waitcnt lgkmcnt(0)
	v_mul_f64 v[57:58], v[74:75], v[80:81]
	v_mul_f64 v[66:67], v[72:73], v[80:81]
	v_fma_f64 v[57:58], v[72:73], v[78:79], -v[57:58]
	v_lshrrev_b32_e32 v72, 6, v64
	v_fma_f64 v[66:67], v[74:75], v[78:79], v[66:67]
	v_and_b32_e32 v72, 0x1f0, v72
	v_add_nc_u32_e32 v72, s0, v72
	ds_read_b128 v[72:75], v72 offset:1024
	s_waitcnt lgkmcnt(0)
	v_mul_f64 v[78:79], v[66:67], v[74:75]
	v_fma_f64 v[78:79], v[72:73], v[57:58], -v[78:79]
	v_mul_f64 v[57:58], v[57:58], v[74:75]
	v_add_nc_u32_e32 v74, v64, v63
	v_fma_f64 v[66:67], v[72:73], v[66:67], v[57:58]
	v_mul_f64 v[57:58], v[61:62], v[66:67]
	v_fma_f64 v[57:58], v[59:60], v[78:79], -v[57:58]
	v_mul_f64 v[59:60], v[59:60], v[66:67]
	v_lshrrev_b32_e32 v66, 1, v74
	v_and_b32_e32 v66, 0x1f0, v66
	v_add_nc_u32_e32 v66, s0, v66
	v_fma_f64 v[59:60], v[61:62], v[78:79], v[59:60]
	v_and_b32_e32 v61, 31, v74
	ds_read_b128 v[78:81], v66 offset:512
	v_lshl_add_u32 v61, v61, 4, 0
	ds_read_b128 v[61:64], v61 offset:29952
	s_waitcnt lgkmcnt(0)
	v_mul_f64 v[66:67], v[63:64], v[80:81]
	v_fma_f64 v[72:73], v[61:62], v[78:79], -v[66:67]
	v_mul_f64 v[61:62], v[61:62], v[80:81]
	v_fma_f64 v[66:67], v[63:64], v[78:79], v[61:62]
	v_lshrrev_b32_e32 v61, 6, v74
	v_and_b32_e32 v61, 0x1f0, v61
	v_add_nc_u32_e32 v61, s0, v61
	v_cmp_gt_u32_e64 s0, 0x75, v0
	ds_read_b128 v[61:64], v61 offset:1024
	s_waitcnt lgkmcnt(0)
	v_mul_f64 v[74:75], v[66:67], v[63:64]
	v_mul_f64 v[63:64], v[72:73], v[63:64]
	v_fma_f64 v[74:75], v[61:62], v[72:73], -v[74:75]
	v_fma_f64 v[63:64], v[61:62], v[66:67], v[63:64]
	v_mul_hi_u32 v66, 0x2302303, v0
	v_cndmask_b32_e64 v0, 0, 1, s0
	v_readfirstlane_b32 s0, v76
	v_mul_u32_u24_e32 v66, 0xd0, v66
	v_or_b32_e32 v66, v66, v77
	v_mul_lo_u32 v67, s16, v66
	v_mul_f64 v[61:62], v[70:71], v[63:64]
	v_mul_f64 v[63:64], v[68:69], v[63:64]
	v_fma_f64 v[61:62], v[68:69], v[74:75], -v[61:62]
	v_cndmask_b32_e64 v68, 0, 1, vcc_lo
	v_fma_f64 v[63:64], v[70:71], v[74:75], v[63:64]
	v_cndmask_b32_e64 v0, v68, v0, s1
	v_and_b32_e32 v0, 1, v0
	v_cmp_eq_u32_e32 vcc_lo, 1, v0
	v_add_lshl_u32 v0, v65, v67, 4
	v_cndmask_b32_e32 v0, -1, v0, vcc_lo
	buffer_store_dwordx4 v[1:4], v0, s[8:11], s0 offen
	v_add_nc_u32_e32 v0, 13, v66
	v_mul_lo_u32 v0, s16, v0
	v_add_lshl_u32 v0, v65, v0, 4
	v_cndmask_b32_e32 v0, -1, v0, vcc_lo
	buffer_store_dwordx4 v[5:8], v0, s[8:11], s0 offen
	v_add_nc_u32_e32 v0, 26, v66
	v_mul_lo_u32 v0, s16, v0
	;; [unrolled: 5-line block ×15, first 2 shown]
	v_add_lshl_u32 v0, v65, v0, 4
	v_cndmask_b32_e32 v0, -1, v0, vcc_lo
	buffer_store_dwordx4 v[61:64], v0, s[8:11], s0 offen
	s_endpgm
	.section	.rodata,"a",@progbits
	.p2align	6, 0x0
	.amdhsa_kernel fft_rtc_fwd_len208_factors_13_16_wgs_144_tpt_16_dp_ip_CI_sbcc_twdbase5_3step_dirReg_intrinsicReadWrite
		.amdhsa_group_segment_fixed_size 0
		.amdhsa_private_segment_fixed_size 0
		.amdhsa_kernarg_size 96
		.amdhsa_user_sgpr_count 6
		.amdhsa_user_sgpr_private_segment_buffer 1
		.amdhsa_user_sgpr_dispatch_ptr 0
		.amdhsa_user_sgpr_queue_ptr 0
		.amdhsa_user_sgpr_kernarg_segment_ptr 1
		.amdhsa_user_sgpr_dispatch_id 0
		.amdhsa_user_sgpr_flat_scratch_init 0
		.amdhsa_user_sgpr_private_segment_size 0
		.amdhsa_wavefront_size32 1
		.amdhsa_uses_dynamic_stack 0
		.amdhsa_system_sgpr_private_segment_wavefront_offset 0
		.amdhsa_system_sgpr_workgroup_id_x 1
		.amdhsa_system_sgpr_workgroup_id_y 0
		.amdhsa_system_sgpr_workgroup_id_z 0
		.amdhsa_system_sgpr_workgroup_info 0
		.amdhsa_system_vgpr_workitem_id 0
		.amdhsa_next_free_vgpr 107
		.amdhsa_next_free_sgpr 43
		.amdhsa_reserve_vcc 1
		.amdhsa_reserve_flat_scratch 0
		.amdhsa_float_round_mode_32 0
		.amdhsa_float_round_mode_16_64 0
		.amdhsa_float_denorm_mode_32 3
		.amdhsa_float_denorm_mode_16_64 3
		.amdhsa_dx10_clamp 1
		.amdhsa_ieee_mode 1
		.amdhsa_fp16_overflow 0
		.amdhsa_workgroup_processor_mode 1
		.amdhsa_memory_ordered 1
		.amdhsa_forward_progress 0
		.amdhsa_shared_vgpr_count 0
		.amdhsa_exception_fp_ieee_invalid_op 0
		.amdhsa_exception_fp_denorm_src 0
		.amdhsa_exception_fp_ieee_div_zero 0
		.amdhsa_exception_fp_ieee_overflow 0
		.amdhsa_exception_fp_ieee_underflow 0
		.amdhsa_exception_fp_ieee_inexact 0
		.amdhsa_exception_int_div_zero 0
	.end_amdhsa_kernel
	.text
.Lfunc_end0:
	.size	fft_rtc_fwd_len208_factors_13_16_wgs_144_tpt_16_dp_ip_CI_sbcc_twdbase5_3step_dirReg_intrinsicReadWrite, .Lfunc_end0-fft_rtc_fwd_len208_factors_13_16_wgs_144_tpt_16_dp_ip_CI_sbcc_twdbase5_3step_dirReg_intrinsicReadWrite
                                        ; -- End function
	.section	.AMDGPU.csdata,"",@progbits
; Kernel info:
; codeLenInByte = 11520
; NumSgprs: 45
; NumVgprs: 107
; ScratchSize: 0
; MemoryBound: 0
; FloatMode: 240
; IeeeMode: 1
; LDSByteSize: 0 bytes/workgroup (compile time only)
; SGPRBlocks: 5
; VGPRBlocks: 13
; NumSGPRsForWavesPerEU: 45
; NumVGPRsForWavesPerEU: 107
; Occupancy: 9
; WaveLimiterHint : 0
; COMPUTE_PGM_RSRC2:SCRATCH_EN: 0
; COMPUTE_PGM_RSRC2:USER_SGPR: 6
; COMPUTE_PGM_RSRC2:TRAP_HANDLER: 0
; COMPUTE_PGM_RSRC2:TGID_X_EN: 1
; COMPUTE_PGM_RSRC2:TGID_Y_EN: 0
; COMPUTE_PGM_RSRC2:TGID_Z_EN: 0
; COMPUTE_PGM_RSRC2:TIDIG_COMP_CNT: 0
	.text
	.p2alignl 6, 3214868480
	.fill 48, 4, 3214868480
	.type	__hip_cuid_cc67e8078a435c49,@object ; @__hip_cuid_cc67e8078a435c49
	.section	.bss,"aw",@nobits
	.globl	__hip_cuid_cc67e8078a435c49
__hip_cuid_cc67e8078a435c49:
	.byte	0                               ; 0x0
	.size	__hip_cuid_cc67e8078a435c49, 1

	.ident	"AMD clang version 19.0.0git (https://github.com/RadeonOpenCompute/llvm-project roc-6.4.0 25133 c7fe45cf4b819c5991fe208aaa96edf142730f1d)"
	.section	".note.GNU-stack","",@progbits
	.addrsig
	.addrsig_sym __hip_cuid_cc67e8078a435c49
	.amdgpu_metadata
---
amdhsa.kernels:
  - .args:
      - .actual_access:  read_only
        .address_space:  global
        .offset:         0
        .size:           8
        .value_kind:     global_buffer
      - .address_space:  global
        .offset:         8
        .size:           8
        .value_kind:     global_buffer
      - .offset:         16
        .size:           8
        .value_kind:     by_value
      - .actual_access:  read_only
        .address_space:  global
        .offset:         24
        .size:           8
        .value_kind:     global_buffer
      - .actual_access:  read_only
        .address_space:  global
        .offset:         32
        .size:           8
        .value_kind:     global_buffer
      - .offset:         40
        .size:           8
        .value_kind:     by_value
      - .actual_access:  read_only
        .address_space:  global
        .offset:         48
        .size:           8
        .value_kind:     global_buffer
      - .actual_access:  read_only
        .address_space:  global
        .offset:         56
        .size:           8
        .value_kind:     global_buffer
      - .offset:         64
        .size:           4
        .value_kind:     by_value
      - .actual_access:  read_only
        .address_space:  global
        .offset:         72
        .size:           8
        .value_kind:     global_buffer
      - .actual_access:  read_only
        .address_space:  global
        .offset:         80
        .size:           8
        .value_kind:     global_buffer
      - .address_space:  global
        .offset:         88
        .size:           8
        .value_kind:     global_buffer
    .group_segment_fixed_size: 0
    .kernarg_segment_align: 8
    .kernarg_segment_size: 96
    .language:       OpenCL C
    .language_version:
      - 2
      - 0
    .max_flat_workgroup_size: 144
    .name:           fft_rtc_fwd_len208_factors_13_16_wgs_144_tpt_16_dp_ip_CI_sbcc_twdbase5_3step_dirReg_intrinsicReadWrite
    .private_segment_fixed_size: 0
    .sgpr_count:     45
    .sgpr_spill_count: 0
    .symbol:         fft_rtc_fwd_len208_factors_13_16_wgs_144_tpt_16_dp_ip_CI_sbcc_twdbase5_3step_dirReg_intrinsicReadWrite.kd
    .uniform_work_group_size: 1
    .uses_dynamic_stack: false
    .vgpr_count:     107
    .vgpr_spill_count: 0
    .wavefront_size: 32
    .workgroup_processor_mode: 1
amdhsa.target:   amdgcn-amd-amdhsa--gfx1030
amdhsa.version:
  - 1
  - 2
...

	.end_amdgpu_metadata
